;; amdgpu-corpus repo=ROCm/rocFFT kind=compiled arch=gfx906 opt=O3
	.text
	.amdgcn_target "amdgcn-amd-amdhsa--gfx906"
	.amdhsa_code_object_version 6
	.protected	fft_rtc_fwd_len1859_factors_13_11_13_wgs_169_tpt_169_halfLds_half_op_CI_CI_unitstride_sbrr_dirReg ; -- Begin function fft_rtc_fwd_len1859_factors_13_11_13_wgs_169_tpt_169_halfLds_half_op_CI_CI_unitstride_sbrr_dirReg
	.globl	fft_rtc_fwd_len1859_factors_13_11_13_wgs_169_tpt_169_halfLds_half_op_CI_CI_unitstride_sbrr_dirReg
	.p2align	8
	.type	fft_rtc_fwd_len1859_factors_13_11_13_wgs_169_tpt_169_halfLds_half_op_CI_CI_unitstride_sbrr_dirReg,@function
fft_rtc_fwd_len1859_factors_13_11_13_wgs_169_tpt_169_halfLds_half_op_CI_CI_unitstride_sbrr_dirReg: ; @fft_rtc_fwd_len1859_factors_13_11_13_wgs_169_tpt_169_halfLds_half_op_CI_CI_unitstride_sbrr_dirReg
; %bb.0:
	s_load_dwordx4 s[8:11], s[4:5], 0x58
	s_load_dwordx4 s[12:15], s[4:5], 0x0
	;; [unrolled: 1-line block ×3, first 2 shown]
	v_mul_u32_u24_e32 v1, 0x184, v0
	v_add_u32_sdwa v9, s6, v1 dst_sel:DWORD dst_unused:UNUSED_PAD src0_sel:DWORD src1_sel:WORD_1
	v_mov_b32_e32 v5, 0
	s_waitcnt lgkmcnt(0)
	v_cmp_lt_u64_e64 s[0:1], s[14:15], 2
	v_mov_b32_e32 v1, 0
	v_mov_b32_e32 v10, v5
	s_and_b64 vcc, exec, s[0:1]
	v_mov_b32_e32 v2, 0
	s_cbranch_vccnz .LBB0_8
; %bb.1:
	s_load_dwordx2 s[0:1], s[4:5], 0x10
	s_add_u32 s2, s18, 8
	s_addc_u32 s3, s19, 0
	s_add_u32 s6, s16, 8
	v_mov_b32_e32 v1, 0
	s_addc_u32 s7, s17, 0
	v_mov_b32_e32 v2, 0
	s_waitcnt lgkmcnt(0)
	s_add_u32 s20, s0, 8
	v_mov_b32_e32 v4, v2
	s_addc_u32 s21, s1, 0
	s_mov_b64 s[22:23], 1
	v_mov_b32_e32 v3, v1
.LBB0_2:                                ; =>This Inner Loop Header: Depth=1
	s_load_dwordx2 s[24:25], s[20:21], 0x0
                                        ; implicit-def: $vgpr7_vgpr8
	s_waitcnt lgkmcnt(0)
	v_or_b32_e32 v6, s25, v10
	v_cmp_ne_u64_e32 vcc, 0, v[5:6]
	s_and_saveexec_b64 s[0:1], vcc
	s_xor_b64 s[26:27], exec, s[0:1]
	s_cbranch_execz .LBB0_4
; %bb.3:                                ;   in Loop: Header=BB0_2 Depth=1
	v_cvt_f32_u32_e32 v6, s24
	v_cvt_f32_u32_e32 v7, s25
	s_sub_u32 s0, 0, s24
	s_subb_u32 s1, 0, s25
	v_mac_f32_e32 v6, 0x4f800000, v7
	v_rcp_f32_e32 v6, v6
	v_mul_f32_e32 v6, 0x5f7ffffc, v6
	v_mul_f32_e32 v7, 0x2f800000, v6
	v_trunc_f32_e32 v7, v7
	v_mac_f32_e32 v6, 0xcf800000, v7
	v_cvt_u32_f32_e32 v7, v7
	v_cvt_u32_f32_e32 v6, v6
	v_mul_lo_u32 v8, s0, v7
	v_mul_hi_u32 v11, s0, v6
	v_mul_lo_u32 v13, s1, v6
	v_mul_lo_u32 v12, s0, v6
	v_add_u32_e32 v8, v11, v8
	v_add_u32_e32 v8, v8, v13
	v_mul_hi_u32 v11, v6, v12
	v_mul_lo_u32 v13, v6, v8
	v_mul_hi_u32 v15, v6, v8
	v_mul_hi_u32 v14, v7, v12
	v_mul_lo_u32 v12, v7, v12
	v_mul_hi_u32 v16, v7, v8
	v_add_co_u32_e32 v11, vcc, v11, v13
	v_addc_co_u32_e32 v13, vcc, 0, v15, vcc
	v_mul_lo_u32 v8, v7, v8
	v_add_co_u32_e32 v11, vcc, v11, v12
	v_addc_co_u32_e32 v11, vcc, v13, v14, vcc
	v_addc_co_u32_e32 v12, vcc, 0, v16, vcc
	v_add_co_u32_e32 v8, vcc, v11, v8
	v_addc_co_u32_e32 v11, vcc, 0, v12, vcc
	v_add_co_u32_e32 v6, vcc, v6, v8
	v_addc_co_u32_e32 v7, vcc, v7, v11, vcc
	v_mul_lo_u32 v8, s0, v7
	v_mul_hi_u32 v11, s0, v6
	v_mul_lo_u32 v12, s1, v6
	v_mul_lo_u32 v13, s0, v6
	v_add_u32_e32 v8, v11, v8
	v_add_u32_e32 v8, v8, v12
	v_mul_lo_u32 v14, v6, v8
	v_mul_hi_u32 v15, v6, v13
	v_mul_hi_u32 v16, v6, v8
	v_mul_hi_u32 v12, v7, v13
	v_mul_lo_u32 v13, v7, v13
	v_mul_hi_u32 v11, v7, v8
	v_add_co_u32_e32 v14, vcc, v15, v14
	v_addc_co_u32_e32 v15, vcc, 0, v16, vcc
	v_mul_lo_u32 v8, v7, v8
	v_add_co_u32_e32 v13, vcc, v14, v13
	v_addc_co_u32_e32 v12, vcc, v15, v12, vcc
	v_addc_co_u32_e32 v11, vcc, 0, v11, vcc
	v_add_co_u32_e32 v8, vcc, v12, v8
	v_addc_co_u32_e32 v11, vcc, 0, v11, vcc
	v_add_co_u32_e32 v8, vcc, v6, v8
	v_addc_co_u32_e32 v11, vcc, v7, v11, vcc
	v_mad_u64_u32 v[6:7], s[0:1], v9, v11, 0
	v_mul_hi_u32 v12, v9, v8
	v_add_co_u32_e32 v13, vcc, v12, v6
	v_addc_co_u32_e32 v14, vcc, 0, v7, vcc
	v_mad_u64_u32 v[6:7], s[0:1], v10, v8, 0
	v_mad_u64_u32 v[11:12], s[0:1], v10, v11, 0
	v_add_co_u32_e32 v6, vcc, v13, v6
	v_addc_co_u32_e32 v6, vcc, v14, v7, vcc
	v_addc_co_u32_e32 v7, vcc, 0, v12, vcc
	v_add_co_u32_e32 v11, vcc, v6, v11
	v_addc_co_u32_e32 v8, vcc, 0, v7, vcc
	v_mul_lo_u32 v12, s25, v11
	v_mul_lo_u32 v13, s24, v8
	v_mad_u64_u32 v[6:7], s[0:1], s24, v11, 0
	v_add3_u32 v7, v7, v13, v12
	v_sub_u32_e32 v12, v10, v7
	v_mov_b32_e32 v13, s25
	v_sub_co_u32_e32 v6, vcc, v9, v6
	v_subb_co_u32_e64 v12, s[0:1], v12, v13, vcc
	v_subrev_co_u32_e64 v13, s[0:1], s24, v6
	v_subbrev_co_u32_e64 v12, s[0:1], 0, v12, s[0:1]
	v_cmp_le_u32_e64 s[0:1], s25, v12
	v_cndmask_b32_e64 v14, 0, -1, s[0:1]
	v_cmp_le_u32_e64 s[0:1], s24, v13
	v_cndmask_b32_e64 v13, 0, -1, s[0:1]
	v_cmp_eq_u32_e64 s[0:1], s25, v12
	v_cndmask_b32_e64 v12, v14, v13, s[0:1]
	v_add_co_u32_e64 v13, s[0:1], 2, v11
	v_addc_co_u32_e64 v14, s[0:1], 0, v8, s[0:1]
	v_add_co_u32_e64 v15, s[0:1], 1, v11
	v_addc_co_u32_e64 v16, s[0:1], 0, v8, s[0:1]
	v_subb_co_u32_e32 v7, vcc, v10, v7, vcc
	v_cmp_ne_u32_e64 s[0:1], 0, v12
	v_cmp_le_u32_e32 vcc, s25, v7
	v_cndmask_b32_e64 v12, v16, v14, s[0:1]
	v_cndmask_b32_e64 v14, 0, -1, vcc
	v_cmp_le_u32_e32 vcc, s24, v6
	v_cndmask_b32_e64 v6, 0, -1, vcc
	v_cmp_eq_u32_e32 vcc, s25, v7
	v_cndmask_b32_e32 v6, v14, v6, vcc
	v_cmp_ne_u32_e32 vcc, 0, v6
	v_cndmask_b32_e64 v6, v15, v13, s[0:1]
	v_cndmask_b32_e32 v8, v8, v12, vcc
	v_cndmask_b32_e32 v7, v11, v6, vcc
.LBB0_4:                                ;   in Loop: Header=BB0_2 Depth=1
	s_andn2_saveexec_b64 s[0:1], s[26:27]
	s_cbranch_execz .LBB0_6
; %bb.5:                                ;   in Loop: Header=BB0_2 Depth=1
	v_cvt_f32_u32_e32 v6, s24
	s_sub_i32 s26, 0, s24
	v_rcp_iflag_f32_e32 v6, v6
	v_mul_f32_e32 v6, 0x4f7ffffe, v6
	v_cvt_u32_f32_e32 v6, v6
	v_mul_lo_u32 v7, s26, v6
	v_mul_hi_u32 v7, v6, v7
	v_add_u32_e32 v6, v6, v7
	v_mul_hi_u32 v6, v9, v6
	v_mul_lo_u32 v7, v6, s24
	v_add_u32_e32 v8, 1, v6
	v_sub_u32_e32 v7, v9, v7
	v_subrev_u32_e32 v11, s24, v7
	v_cmp_le_u32_e32 vcc, s24, v7
	v_cndmask_b32_e32 v7, v7, v11, vcc
	v_cndmask_b32_e32 v6, v6, v8, vcc
	v_add_u32_e32 v8, 1, v6
	v_cmp_le_u32_e32 vcc, s24, v7
	v_cndmask_b32_e32 v7, v6, v8, vcc
	v_mov_b32_e32 v8, v5
.LBB0_6:                                ;   in Loop: Header=BB0_2 Depth=1
	s_or_b64 exec, exec, s[0:1]
	v_mul_lo_u32 v6, v8, s24
	v_mul_lo_u32 v13, v7, s25
	v_mad_u64_u32 v[11:12], s[0:1], v7, s24, 0
	s_load_dwordx2 s[0:1], s[6:7], 0x0
	s_load_dwordx2 s[24:25], s[2:3], 0x0
	v_add3_u32 v6, v12, v13, v6
	v_sub_co_u32_e32 v9, vcc, v9, v11
	v_subb_co_u32_e32 v6, vcc, v10, v6, vcc
	s_waitcnt lgkmcnt(0)
	v_mul_lo_u32 v10, s0, v6
	v_mul_lo_u32 v11, s1, v9
	v_mad_u64_u32 v[1:2], s[0:1], s0, v9, v[1:2]
	s_add_u32 s22, s22, 1
	s_addc_u32 s23, s23, 0
	s_add_u32 s2, s2, 8
	v_mul_lo_u32 v6, s24, v6
	v_mul_lo_u32 v12, s25, v9
	v_mad_u64_u32 v[3:4], s[0:1], s24, v9, v[3:4]
	v_add3_u32 v2, v11, v2, v10
	s_addc_u32 s3, s3, 0
	v_mov_b32_e32 v9, s14
	s_add_u32 s6, s6, 8
	v_mov_b32_e32 v10, s15
	s_addc_u32 s7, s7, 0
	v_cmp_ge_u64_e32 vcc, s[22:23], v[9:10]
	s_add_u32 s20, s20, 8
	v_add3_u32 v4, v12, v4, v6
	s_addc_u32 s21, s21, 0
	s_cbranch_vccnz .LBB0_9
; %bb.7:                                ;   in Loop: Header=BB0_2 Depth=1
	v_mov_b32_e32 v10, v8
	v_mov_b32_e32 v9, v7
	s_branch .LBB0_2
.LBB0_8:
	v_mov_b32_e32 v4, v2
	v_mov_b32_e32 v7, v9
	;; [unrolled: 1-line block ×4, first 2 shown]
.LBB0_9:
	s_mov_b32 s2, 0x183c978
	s_load_dwordx2 s[0:1], s[4:5], 0x28
	v_mul_hi_u32 v5, v0, s2
	s_lshl_b64 s[14:15], s[14:15], 3
	s_movk_i32 s2, 0x8f
	s_add_u32 s4, s18, s14
	v_mul_u32_u24_e32 v5, 0xa9, v5
	s_waitcnt lgkmcnt(0)
	v_cmp_gt_u64_e64 s[0:1], s[0:1], v[7:8]
	v_sub_u32_e32 v5, v0, v5
	v_cmp_gt_u32_e32 vcc, s2, v5
	s_addc_u32 s5, s19, s15
	s_and_b64 s[2:3], s[0:1], vcc
	v_mov_b32_e32 v9, 0
	v_mov_b32_e32 v12, 0
                                        ; implicit-def: $vgpr17
                                        ; implicit-def: $vgpr6
                                        ; implicit-def: $vgpr20
                                        ; implicit-def: $vgpr18
                                        ; implicit-def: $vgpr23
                                        ; implicit-def: $vgpr19
                                        ; implicit-def: $vgpr26
                                        ; implicit-def: $vgpr21
                                        ; implicit-def: $vgpr29
                                        ; implicit-def: $vgpr22
                                        ; implicit-def: $vgpr15
                                        ; implicit-def: $vgpr24
                                        ; implicit-def: $vgpr0
                                        ; implicit-def: $vgpr31
                                        ; implicit-def: $vgpr11
                                        ; implicit-def: $vgpr30
                                        ; implicit-def: $vgpr13
                                        ; implicit-def: $vgpr28
                                        ; implicit-def: $vgpr14
                                        ; implicit-def: $vgpr27
                                        ; implicit-def: $vgpr16
                                        ; implicit-def: $vgpr25
                                        ; implicit-def: $vgpr32
	s_and_saveexec_b64 s[6:7], s[2:3]
	s_cbranch_execz .LBB0_11
; %bb.10:
	s_add_u32 s0, s16, s14
	s_addc_u32 s1, s17, s15
	s_load_dwordx2 s[0:1], s[0:1], 0x0
	v_mov_b32_e32 v12, s9
	v_mov_b32_e32 v6, 0
	s_waitcnt lgkmcnt(0)
	v_mul_lo_u32 v0, s1, v7
	v_mul_lo_u32 v11, s0, v8
	v_mad_u64_u32 v[9:10], s[0:1], s0, v7, 0
	v_add3_u32 v10, v10, v11, v0
	v_lshlrev_b64 v[9:10], 2, v[9:10]
	v_lshlrev_b64 v[0:1], 2, v[1:2]
	v_add_co_u32_e64 v9, s[0:1], s8, v9
	v_addc_co_u32_e64 v10, s[0:1], v12, v10, s[0:1]
	v_add_co_u32_e64 v2, s[0:1], v9, v0
	v_addc_co_u32_e64 v9, s[0:1], v10, v1, s[0:1]
	v_lshlrev_b64 v[0:1], 2, v[5:6]
	v_add_co_u32_e64 v0, s[0:1], v2, v0
	v_addc_co_u32_e64 v1, s[0:1], v9, v1, s[0:1]
	s_movk_i32 s0, 0x1000
	v_add_co_u32_e64 v10, s[0:1], s0, v0
	v_addc_co_u32_e64 v11, s[0:1], 0, v1, s[0:1]
	global_load_dword v9, v[0:1], off
	global_load_dword v6, v[0:1], off offset:572
	global_load_dword v18, v[0:1], off offset:1144
	;; [unrolled: 1-line block ×12, first 2 shown]
	s_mov_b32 s0, 0x7060302
	s_waitcnt vmcnt(11)
	v_lshrrev_b32_e32 v17, 16, v6
	s_waitcnt vmcnt(10)
	v_lshrrev_b32_e32 v20, 16, v18
	;; [unrolled: 2-line block ×11, first 2 shown]
	s_waitcnt vmcnt(0)
	v_perm_b32 v12, v9, v32, s0
.LBB0_11:
	s_or_b64 exec, exec, s[6:7]
	v_add_f16_e32 v38, v6, v31
	s_mov_b32 s6, 0x3b15388b
	v_sub_f16_e32 v37, v17, v0
	v_pk_mul_f16 v1, v38, s6 op_sel_hi:[0,1]
	s_mov_b32 s16, 0xb770ba95
	v_pk_fma_f16 v2, v37, s16, v1 op_sel_hi:[0,1,1]
	s_mov_b32 s7, 0x388bb5ac
	v_add_f16_e32 v40, v18, v30
	v_pk_add_f16 v10, v9, v2 op_sel_hi:[0,1]
	s_mov_b32 s17, 0xba95bb7b
	v_sub_f16_e32 v39, v20, v11
	v_pk_mul_f16 v2, v40, s7 op_sel_hi:[0,1]
	v_pk_fma_f16 v33, v39, s17, v2 op_sel_hi:[0,1,1]
	s_mov_b32 s8, 0x2fb7bbc4
	v_add_f16_e32 v42, v19, v28
	v_pk_add_f16 v10, v10, v33
	s_mov_b32 s18, 0xbbf1b3a8
	v_sub_f16_e32 v41, v23, v13
	v_pk_mul_f16 v33, v42, s8 op_sel_hi:[0,1]
	v_pk_fma_f16 v34, v41, s18, v33 op_sel_hi:[0,1,1]
	s_mov_b32 s9, 0xb5acb9fd
	v_add_f16_e32 v44, v21, v27
	v_pk_add_f16 v10, v10, v34
	;; [unrolled: 7-line block ×4, first 2 shown]
	s_mov_b32 s21, 0xb3a83770
	v_sub_f16_e32 v47, v15, v12
	v_pk_mul_f16 v36, v48, s15 op_sel_hi:[0,1]
	v_pk_fma_f16 v49, v47, s21, v36 op_sel_hi:[0,1,1]
	v_pk_add_f16 v10, v10, v49
	s_and_saveexec_b64 s[0:1], vcc
	s_cbranch_execz .LBB0_13
; %bb.12:
	v_pack_b32_f16 v49, v37, v37
	v_pk_mul_f16 v37, v37, s16 op_sel_hi:[0,1]
	s_mov_b32 s22, 0x5040100
	v_perm_b32 v50, v9, v9, s22
	v_pack_b32_f16 v51, v39, v39
	v_pk_mul_f16 v39, v39, s17 op_sel_hi:[0,1]
	v_pk_add_f16 v1, v1, v37 neg_lo:[0,1] neg_hi:[0,1]
	v_pack_b32_f16 v52, v41, v41
	v_pk_mul_f16 v41, v41, s18 op_sel_hi:[0,1]
	v_pk_add_f16 v1, v50, v1
	v_pk_add_f16 v2, v2, v39 neg_lo:[0,1] neg_hi:[0,1]
	v_pack_b32_f16 v53, v43, v43
	v_pk_mul_f16 v43, v43, s19 op_sel_hi:[0,1]
	v_pk_add_f16 v1, v1, v2
	;; [unrolled: 4-line block ×4, first 2 shown]
	v_pk_add_f16 v2, v35, v45 neg_lo:[0,1] neg_hi:[0,1]
	v_pack_b32_f16 v38, v38, v38
	s_mov_b32 s22, 0xbbc4b9fd
	s_mov_b32 s28, 0xb5ac2fb7
	v_pk_add_f16 v1, v1, v2
	v_pk_add_f16 v2, v36, v47 neg_lo:[0,1] neg_hi:[0,1]
	v_pack_b32_f16 v40, v40, v40
	v_pk_mul_f16 v56, v38, s22
	s_mov_b32 s23, 0x3b152fb7
	v_pk_mul_f16 v38, v38, s28
	s_mov_b32 s28, 0xbb7bbbf1
	s_mov_b32 s29, 0xb9fdbbc4
	v_pk_add_f16 v1, v1, v2
	v_pack_b32_f16 v42, v42, v42
	v_pk_mul_f16 v57, v40, s23
	s_mov_b32 s24, 0xb9fd388b
	v_pk_mul_f16 v40, v40, s29
	s_mov_b32 s29, 0x394eb3a8
	s_mov_b32 s30, 0x3b15b5ac
	v_alignbit_b32 v33, v1, v1, 16
	v_pk_fma_f16 v1, v49, s28, v38 neg_lo:[1,0,0] neg_hi:[1,0,0]
	v_pack_b32_f16 v44, v44, v44
	v_pk_mul_f16 v58, v42, s24
	s_mov_b32 s25, 0x388bbbc4
	v_pk_mul_f16 v42, v42, s30
	s_mov_b32 s30, 0x37703b7b
	s_mov_b32 s31, 0x2fb73b15
	v_pk_add_f16 v1, v50, v1
	v_pk_fma_f16 v2, v51, s29, v40 neg_lo:[1,0,0] neg_hi:[1,0,0]
	v_pack_b32_f16 v46, v46, v46
	v_pk_mul_f16 v59, v44, s25
	s_mov_b32 s26, 0xb5ac3b15
	v_pk_mul_f16 v44, v44, s31
	s_mov_b32 s31, 0xbbf13770
	s_mov_b32 s33, 0xbbc4388b
	v_pk_add_f16 v1, v1, v2
	;; [unrolled: 8-line block ×3, first 2 shown]
	v_pk_fma_f16 v2, v53, s31, v44 neg_lo:[1,0,0] neg_hi:[1,0,0]
	v_pk_mul_f16 v61, v48, s27
	v_pk_mul_f16 v48, v48, s34
	s_mov_b32 s34, 0x3a95b94e
	v_pk_add_f16 v1, v1, v2
	v_pk_fma_f16 v2, v54, s33, v46 neg_lo:[1,0,0] neg_hi:[1,0,0]
	s_mov_b32 s22, 0xb3a8b94e
	v_pk_add_f16 v1, v1, v2
	v_pk_fma_f16 v2, v55, s34, v48 neg_lo:[1,0,0] neg_hi:[1,0,0]
	;; [unrolled: 3-line block ×7, first 2 shown]
	v_pk_add_f16 v1, v1, v2
	v_pk_fma_f16 v2, v55, s27, v61 neg_lo:[1,0,0] neg_hi:[1,0,0]
	v_pk_add_f16 v35, v1, v2
	v_pk_fma_f16 v1, v49, s22, v56
	v_pk_add_f16 v1, v50, v1
	v_pk_fma_f16 v2, v51, s23, v57
	v_add_f16_e32 v9, v9, v6
	v_pk_add_f16 v1, v1, v2
	v_pk_fma_f16 v2, v52, s24, v58
	v_add_f16_e32 v9, v9, v18
	v_pk_add_f16 v1, v1, v2
	v_pk_fma_f16 v2, v53, s25, v59
	v_add_f16_e32 v9, v9, v19
	v_pk_add_f16 v1, v1, v2
	v_pk_fma_f16 v2, v54, s26, v60
	v_add_f16_e32 v9, v9, v21
	v_pk_add_f16 v1, v1, v2
	v_pk_fma_f16 v2, v55, s27, v61
	v_add_f16_e32 v9, v9, v22
	v_pk_add_f16 v1, v1, v2
	v_add_f16_e32 v9, v9, v24
	v_alignbit_b32 v36, v1, v1, 16
	v_pk_fma_f16 v1, v49, s28, v38
	v_add_f16_e32 v9, v9, v32
	v_pk_add_f16 v1, v50, v1
	v_pk_fma_f16 v2, v51, s29, v40
	v_add_f16_e32 v9, v25, v9
	v_pk_add_f16 v1, v1, v2
	;; [unrolled: 3-line block ×5, first 2 shown]
	v_pk_fma_f16 v2, v55, s34, v48
	v_add_f16_e32 v9, v31, v9
	v_mad_u32_u24 v62, v5, 26, 0
	v_pk_add_f16 v1, v1, v2
	ds_write_b16 v62, v9
	v_alignbit_b32 v9, v1, v1, 16
	ds_write_b128 v62, v[33:36] offset:2
	ds_write_b64 v62, v[9:10] offset:18
.LBB0_13:
	s_or_b64 exec, exec, s[0:1]
	v_sub_f16_e32 v48, v6, v31
	v_lshl_add_u32 v6, v5, 1, 0
	v_sub_f16_e32 v46, v18, v30
	v_sub_f16_e32 v44, v19, v28
	;; [unrolled: 1-line block ×5, first 2 shown]
	s_waitcnt lgkmcnt(0)
	s_barrier
	ds_read_u16 v9, v6
	ds_read_u16 v31, v6 offset:338
	ds_read_u16 v30, v6 offset:676
	;; [unrolled: 1-line block ×10, first 2 shown]
	v_add_f16_e32 v47, v17, v0
	v_pk_mul_f16 v38, v48, s16 op_sel_hi:[0,1]
	v_add_f16_e32 v45, v20, v11
	v_pk_fma_f16 v1, v47, s6, v38 op_sel_hi:[0,1,1] neg_lo:[0,0,1] neg_hi:[0,0,1]
	v_pk_mul_f16 v37, v46, s17 op_sel_hi:[0,1]
	v_add_f16_e32 v43, v23, v13
	v_pk_add_f16 v1, v12, v1 op_sel:[1,0]
	v_pk_fma_f16 v2, v45, s7, v37 op_sel_hi:[0,1,1] neg_lo:[0,0,1] neg_hi:[0,0,1]
	v_pk_mul_f16 v36, v44, s18 op_sel_hi:[0,1]
	v_add_f16_e32 v41, v26, v14
	v_pk_add_f16 v1, v1, v2
	v_pk_fma_f16 v2, v43, s8, v36 op_sel_hi:[0,1,1] neg_lo:[0,0,1] neg_hi:[0,0,1]
	v_pk_mul_f16 v35, v42, s19 op_sel_hi:[0,1]
	v_add_f16_e32 v39, v29, v16
	v_pk_add_f16 v1, v1, v2
	v_pk_fma_f16 v2, v41, s9, v35 op_sel_hi:[0,1,1] neg_lo:[0,0,1] neg_hi:[0,0,1]
	v_pk_mul_f16 v34, v40, s20 op_sel_hi:[0,1]
	v_pk_add_f16 v1, v1, v2
	v_pk_fma_f16 v2, v39, s14, v34 op_sel_hi:[0,1,1] neg_lo:[0,0,1] neg_hi:[0,0,1]
	v_add_f16_e32 v33, v15, v12
	v_pk_add_f16 v2, v1, v2
	v_pk_mul_f16 v1, v32, s21 op_sel_hi:[0,1]
	v_pk_fma_f16 v49, v33, s15, v1 op_sel_hi:[0,1,1] neg_lo:[0,0,1] neg_hi:[0,0,1]
	v_pk_add_f16 v2, v2, v49
	s_waitcnt lgkmcnt(0)
	s_barrier
	s_and_saveexec_b64 s[0:1], vcc
	s_cbranch_execz .LBB0_15
; %bb.14:
	v_add_f16_sdwa v17, v12, v17 dst_sel:DWORD dst_unused:UNUSED_PAD src0_sel:WORD_1 src1_sel:DWORD
	v_add_f16_e32 v17, v17, v20
	v_add_f16_e32 v17, v17, v23
	;; [unrolled: 1-line block ×3, first 2 shown]
	v_pk_mul_f16 v54, v45, s7 op_sel_hi:[0,1]
	v_add_f16_e32 v17, v17, v29
	s_mov_b32 s7, 0xbbc4
	v_mul_f16_e32 v29, 0xb3a8, v48
	v_pack_b32_f16 v49, v47, v47
	v_pk_mul_f16 v50, v47, s6 op_sel_hi:[0,1]
	v_pack_b32_f16 v55, v46, v46
	v_mul_f16_e32 v20, 0x2fb7, v47
	v_mul_f16_e32 v26, 0xbbc4, v47
	v_fma_f16 v47, v47, s7, v29
	v_mul_f16_e32 v68, 0xb3a8, v46
	s_movk_i32 s7, 0x3b15
	v_mul_f16_e32 v46, 0x3770, v46
	v_pack_b32_f16 v51, v48, v48
	v_pack_b32_f16 v53, v45, v45
	v_mul_f16_e32 v23, 0xbbf1, v48
	v_add_f16_sdwa v47, v12, v47 dst_sel:DWORD dst_unused:UNUSED_PAD src0_sel:WORD_1 src1_sel:DWORD
	v_mul_f16_e32 v48, 0xbbc4, v45
	v_mul_f16_e32 v69, 0x3b15, v45
	v_fma_f16 v45, v45, s7, v46
	v_pk_mul_f16 v57, v43, s8 op_sel_hi:[0,1]
	v_add_f16_e32 v45, v47, v45
	s_mov_b32 s8, 0xb9fd
	v_mul_f16_e32 v47, 0xb94e, v44
	v_fma_f16 v70, v43, s8, v47
	v_add_f16_e32 v45, v45, v70
	s_movk_i32 s8, 0x388b
	v_mul_f16_e32 v70, 0x3a95, v42
	v_fma_f16 v71, v41, s8, v70
	s_mov_b32 s7, 0xb5ac
	v_add_f16_e32 v45, v45, v71
	v_mul_f16_e32 v71, 0xbb7b, v40
	v_fma_f16 v72, v39, s7, v71
	s_mov_b32 s7, 0xffff
	v_bfi_b32 v17, s7, v17, v50
	v_bfi_b32 v15, s7, v15, v38
	s_mov_b32 s6, 0x7060302
	v_pk_add_f16 v15, v17, v15
	v_perm_b32 v52, v12, v12, s6
	v_pk_add_f16 v12, v15, v12
	v_pk_add_f16 v15, v54, v37
	v_bfi_b32 v15, s7, v16, v15
	v_pk_mul_f16 v60, v41, s9 op_sel_hi:[0,1]
	v_pk_add_f16 v12, v15, v12
	v_pk_add_f16 v15, v57, v36
	v_pk_mul_f16 v63, v39, s14 op_sel_hi:[0,1]
	v_bfi_b32 v14, s7, v14, v15
	v_pk_add_f16 v15, v60, v35
	v_pk_add_f16 v12, v14, v12
	;; [unrolled: 1-line block ×3, first 2 shown]
	v_bfi_b32 v13, s7, v13, v15
	v_pk_mul_f16 v66, v33, s15 op_sel_hi:[0,1]
	v_pk_add_f16 v12, v13, v12
	v_bfi_b32 v11, s7, v11, v14
	v_pk_add_f16 v11, v11, v12
	v_pk_add_f16 v12, v66, v1
	s_mov_b32 s8, 0x5040100
	v_bfi_b32 v0, s7, v0, v12
	v_perm_b32 v12, v20, v50, s8
	v_perm_b32 v14, v23, v38, s8
	v_pk_add_f16 v12, v12, v14
	v_perm_b32 v14, v48, v54, s8
	v_perm_b32 v15, v68, v37, s8
	v_pack_b32_f16 v58, v44, v44
	v_add_f16_e32 v45, v45, v72
	v_mul_f16_e32 v72, 0xb5ac, v43
	v_mul_f16_e32 v44, 0x3b7b, v44
	v_pk_add_f16 v12, v52, v12
	v_pk_add_f16 v14, v14, v15
	;; [unrolled: 1-line block ×3, first 2 shown]
	v_perm_b32 v14, v72, v57, s8
	v_perm_b32 v15, v44, v36, s8
	v_pack_b32_f16 v61, v42, v42
	v_mul_f16_e32 v17, 0x3b15, v41
	v_mul_f16_e32 v42, 0x3770, v42
	v_pk_add_f16 v14, v14, v15
	v_pk_add_f16 v12, v12, v14
	v_perm_b32 v14, v17, v60, s8
	v_perm_b32 v15, v42, v35, s8
	v_pack_b32_f16 v64, v40, v40
	v_mul_f16_e32 v16, 0x388b, v39
	v_mul_f16_e32 v40, 0xba95, v40
	v_pk_add_f16 v14, v14, v15
	v_pk_add_f16 v12, v12, v14
	v_perm_b32 v14, v16, v63, s8
	v_perm_b32 v15, v40, v34, s8
	v_pk_add_f16 v11, v0, v11
	v_mul_f16_e32 v0, 0xb9fd, v33
	v_mul_f16_e32 v13, 0xb94e, v32
	v_pk_add_f16 v14, v14, v15
	v_pk_add_f16 v12, v12, v14
	v_perm_b32 v14, v0, v66, s8
	v_perm_b32 v1, v13, v1, s8
	s_mov_b32 s9, 0xb94ebb7b
	v_pk_add_f16 v1, v14, v1
	s_mov_b32 s8, 0xb9fdb5ac
	v_pk_mul_f16 v15, v51, s9
	s_mov_b32 s9, 0x3bf1394e
	v_pk_add_f16 v12, v12, v1
	v_pk_mul_f16 v14, v49, s8
	v_pk_fma_f16 v1, v49, s8, v15
	s_mov_b32 s8, 0x2fb7b9fd
	v_pk_mul_f16 v35, v55, s9
	s_mov_b32 s9, 0xba953770
	v_pack_b32_f16 v56, v43, v43
	v_pk_add_f16 v1, v52, v1
	v_pk_mul_f16 v34, v53, s8
	v_pk_fma_f16 v36, v53, s8, v35
	s_mov_b32 s8, 0x388b3b15
	v_pk_mul_f16 v37, v58, s9
	s_mov_b32 s9, 0x33a8bbf1
	v_pack_b32_f16 v59, v41, v41
	;; [unrolled: 7-line block ×3, first 2 shown]
	v_pk_add_f16 v1, v1, v38
	v_pk_mul_f16 v38, v59, s8
	v_pk_fma_f16 v50, v59, s8, v49
	s_mov_b32 s8, 0x3b15bbc4
	v_pk_mul_f16 v51, v64, s9
	v_pk_add_f16 v1, v1, v50
	v_pk_fma_f16 v53, v62, s8, v51
	v_pk_add_f16 v53, v1, v53
	v_pack_b32_f16 v1, v14, v20
	v_pack_b32_f16 v20, v15, v23
	v_pk_add_f16 v1, v1, v20 neg_lo:[0,1] neg_hi:[0,1]
	v_pack_b32_f16 v20, v34, v48
	v_pack_b32_f16 v23, v35, v68
	v_pk_add_f16 v1, v52, v1
	v_pk_add_f16 v20, v20, v23 neg_lo:[0,1] neg_hi:[0,1]
	v_pk_add_f16 v1, v1, v20
	v_pack_b32_f16 v20, v36, v72
	v_pack_b32_f16 v23, v37, v44
	v_pk_add_f16 v20, v20, v23 neg_lo:[0,1] neg_hi:[0,1]
	v_pk_add_f16 v1, v1, v20
	v_pack_b32_f16 v17, v38, v17
	v_pack_b32_f16 v20, v49, v42
	v_bfi_b32 v14, s7, v26, v14
	v_bfi_b32 v15, s7, v29, v15
	v_pk_add_f16 v17, v17, v20 neg_lo:[0,1] neg_hi:[0,1]
	v_pk_add_f16 v14, v14, v15 neg_lo:[0,1] neg_hi:[0,1]
	v_bfi_b32 v15, s7, v69, v34
	v_bfi_b32 v20, s7, v46, v35
	v_mul_f16_e32 v43, 0xb9fd, v43
	v_pk_add_f16 v14, v52, v14
	v_pk_add_f16 v15, v15, v20 neg_lo:[0,1] neg_hi:[0,1]
	v_pk_add_f16 v14, v14, v15
	v_bfi_b32 v15, s7, v43, v36
	v_bfi_b32 v20, s7, v47, v37
	v_pack_b32_f16 v65, v33, v33
	v_pack_b32_f16 v67, v32, v32
	v_mul_f16_e32 v41, 0x388b, v41
	v_pk_mul_f16 v50, v62, s8
	s_mov_b32 s8, 0xb5ac388b
	s_mov_b32 s9, 0xbb7b3a95
	v_pk_add_f16 v15, v15, v20 neg_lo:[0,1] neg_hi:[0,1]
	v_pk_mul_f16 v54, v65, s8
	v_pk_mul_f16 v55, v67, s9
	v_pk_add_f16 v1, v1, v17
	v_pack_b32_f16 v16, v50, v16
	v_pack_b32_f16 v17, v51, v40
	v_pk_add_f16 v14, v14, v15
	v_bfi_b32 v15, s7, v41, v38
	v_bfi_b32 v20, s7, v70, v49
	v_mul_f16_e32 v39, 0xb5ac, v39
	v_pk_add_f16 v16, v16, v17 neg_lo:[0,1] neg_hi:[0,1]
	v_pack_b32_f16 v0, v54, v0
	v_pack_b32_f16 v13, v55, v13
	v_pk_add_f16 v15, v15, v20 neg_lo:[0,1] neg_hi:[0,1]
	v_pk_add_f16 v1, v1, v16
	v_pk_add_f16 v0, v0, v13 neg_lo:[0,1] neg_hi:[0,1]
	v_pk_add_f16 v14, v14, v15
	v_bfi_b32 v15, s7, v39, v50
	v_bfi_b32 v20, s7, v71, v51
	v_pk_add_f16 v1, v1, v0
	v_mul_f16_e32 v0, 0x2fb7, v33
	v_mul_f16_e32 v16, 0x3bf1, v32
	v_pk_add_f16 v15, v15, v20 neg_lo:[0,1] neg_hi:[0,1]
	v_pk_add_f16 v14, v14, v15
	v_bfi_b32 v0, s7, v0, v54
	v_bfi_b32 v15, s7, v16, v55
	s_movk_i32 s6, 0x2fb7
	v_pk_fma_f16 v56, v65, s8, v55
	v_pk_add_f16 v0, v0, v15 neg_lo:[0,1] neg_hi:[0,1]
	v_pk_add_f16 v13, v53, v56
	v_fma_f16 v17, v33, s6, v16
	v_pk_add_f16 v0, v14, v0
	v_mad_u32_u24 v14, v5, 24, v6
	v_add_f16_e32 v17, v45, v17
	ds_write_b96 v14, v[11:13]
	ds_write_b16 v14, v17 offset:12
	ds_write_b96 v14, v[0:2] offset:14
.LBB0_15:
	s_or_b64 exec, exec, s[0:1]
	s_load_dwordx2 s[0:1], s[4:5], 0x0
	s_movk_i32 s4, 0x4f
	v_mul_lo_u16_sdwa v0, v5, s4 dst_sel:DWORD dst_unused:UNUSED_PAD src0_sel:BYTE_0 src1_sel:DWORD
	v_lshrrev_b16_e32 v38, 10, v0
	v_mul_lo_u16_e32 v0, 13, v38
	v_sub_u16_e32 v39, v5, v0
	v_mov_b32_e32 v0, 10
	v_mul_u32_u24_sdwa v0, v39, v0 dst_sel:DWORD dst_unused:UNUSED_PAD src0_sel:BYTE_0 src1_sel:DWORD
	v_lshlrev_b32_e32 v15, 2, v0
	s_waitcnt lgkmcnt(0)
	s_barrier
	global_load_dwordx4 v[11:14], v15, s[12:13]
	global_load_dwordx4 v[34:37], v15, s[12:13] offset:16
	global_load_dwordx2 v[0:1], v15, s[12:13] offset:32
	ds_read_u16 v16, v6
	ds_read_u16 v15, v6 offset:338
	ds_read_u16 v17, v6 offset:676
	;; [unrolled: 1-line block ×10, first 2 shown]
	s_mov_b32 s6, 0xbbad
	s_movk_i32 s7, 0x3abb
	s_mov_b32 s8, 0xb93d
	s_movk_i32 s15, 0x36a6
	s_mov_b32 s9, 0xbb47b853
	s_mov_b32 s17, 0x36a63abb
	;; [unrolled: 1-line block ×21, first 2 shown]
	s_waitcnt vmcnt(0) lgkmcnt(0)
	s_barrier
	v_mul_f16_sdwa v26, v15, v11 dst_sel:DWORD dst_unused:UNUSED_PAD src0_sel:DWORD src1_sel:WORD_1
	v_mul_f16_sdwa v29, v31, v11 dst_sel:DWORD dst_unused:UNUSED_PAD src0_sel:DWORD src1_sel:WORD_1
	;; [unrolled: 1-line block ×17, first 2 shown]
	v_fma_f16 v32, v31, v11, -v26
	v_fma_f16 v33, v15, v11, v29
	v_fma_f16 v31, v17, v12, v47
	v_fma_f16 v17, v25, v34, -v52
	v_fma_f16 v22, v22, v36, -v56
	v_fma_f16 v25, v42, v36, v57
	v_fma_f16 v36, v45, v1, v63
	v_mul_f16_sdwa v59, v21, v37 dst_sel:DWORD dst_unused:UNUSED_PAD src0_sel:DWORD src1_sel:WORD_1
	v_mul_f16_sdwa v60, v44, v0 dst_sel:DWORD dst_unused:UNUSED_PAD src0_sel:DWORD src1_sel:WORD_1
	v_fma_f16 v28, v28, v13, -v48
	v_fma_f16 v29, v20, v13, v49
	v_fma_f16 v26, v27, v14, -v50
	v_fma_f16 v27, v23, v14, v51
	;; [unrolled: 2-line block ×3, first 2 shown]
	v_fma_f16 v35, v44, v0, v61
	v_fma_f16 v18, v18, v1, -v62
	v_sub_f16_e32 v13, v33, v36
	v_mul_f16_sdwa v58, v43, v37 dst_sel:DWORD dst_unused:UNUSED_PAD src0_sel:DWORD src1_sel:WORD_1
	v_fma_f16 v30, v30, v12, -v46
	v_fma_f16 v20, v40, v34, v53
	v_fma_f16 v34, v43, v37, v59
	v_fma_f16 v19, v19, v0, -v60
	v_add_f16_e32 v1, v32, v18
	v_sub_f16_e32 v15, v31, v35
	v_mul_f16_e32 v44, 0xb482, v13
	v_fma_f16 v21, v21, v37, -v58
	v_add_f16_e32 v14, v30, v19
	v_sub_f16_e32 v40, v29, v34
	v_mul_f16_e32 v46, 0x3853, v15
	;; [unrolled: 4-line block ×3, first 2 shown]
	v_fma_f16 v12, v14, s7, -v46
	v_add_f16_e32 v11, v9, v11
	v_add_f16_e32 v41, v26, v22
	v_fma_f16 v49, v37, s8, -v48
	v_add_f16_e32 v11, v12, v11
	v_mul_f16_e32 v50, 0x3b47, v42
	v_add_f16_e32 v11, v49, v11
	v_fma_f16 v12, v41, s15, -v50
	v_pk_mul_f16 v55, v13, s9 op_sel_hi:[0,1]
	v_add_f16_e32 v51, v12, v11
	v_pk_mul_f16 v54, v1, s17 op_sel_hi:[0,1]
	v_pk_fma_f16 v11, v1, s17, v55 op_sel_hi:[0,1,1] neg_lo:[0,0,1] neg_hi:[0,0,1]
	v_pk_mul_f16 v57, v15, s14 op_sel_hi:[0,1]
	v_pk_add_f16 v11, v9, v11 op_sel_hi:[0,1]
	v_add_f16_sdwa v12, v54, v55 dst_sel:DWORD dst_unused:UNUSED_PAD src0_sel:WORD_1 src1_sel:WORD_1
	v_pk_mul_f16 v56, v14, s19 op_sel_hi:[0,1]
	v_pk_fma_f16 v58, v14, s19, v57 op_sel_hi:[0,1,1] neg_lo:[0,0,1] neg_hi:[0,0,1]
	v_add_f16_e32 v12, v9, v12
	v_pk_add_f16 v11, v58, v11
	v_add_f16_sdwa v58, v56, v57 dst_sel:DWORD dst_unused:UNUSED_PAD src0_sel:WORD_1 src1_sel:WORD_1
	v_pk_mul_f16 v59, v40, s18 op_sel_hi:[0,1]
	v_add_f16_e32 v12, v58, v12
	v_pk_mul_f16 v58, v37, s24 op_sel_hi:[0,1]
	v_pk_fma_f16 v60, v37, s24, v59 op_sel_hi:[0,1,1] neg_lo:[0,0,1] neg_hi:[0,0,1]
	v_pk_add_f16 v11, v60, v11
	v_add_f16_sdwa v60, v58, v59 dst_sel:DWORD dst_unused:UNUSED_PAD src0_sel:WORD_1 src1_sel:WORD_1
	v_pk_mul_f16 v61, v42, s20 op_sel_hi:[0,1]
	v_sub_f16_e32 v53, v20, v24
	v_add_f16_e32 v12, v60, v12
	v_pk_mul_f16 v60, v41, s33 op_sel_hi:[0,1]
	v_pk_fma_f16 v62, v41, s33, v61 op_sel_hi:[0,1,1] neg_lo:[0,0,1] neg_hi:[0,0,1]
	v_add_f16_e32 v52, v17, v23
	v_pk_add_f16 v11, v62, v11
	v_add_f16_sdwa v62, v60, v61 dst_sel:DWORD dst_unused:UNUSED_PAD src0_sel:WORD_1 src1_sel:WORD_1
	v_pk_mul_f16 v64, v53, s28 op_sel_hi:[0,1]
	v_add_f16_e32 v62, v62, v12
	v_pk_mul_f16 v63, v52, s35 op_sel_hi:[0,1]
	v_pk_fma_f16 v12, v52, s35, v64 op_sel_hi:[0,1,1] neg_lo:[0,0,1] neg_hi:[0,0,1]
	v_pk_add_f16 v12, v12, v11
	v_add_f16_sdwa v11, v63, v64 dst_sel:DWORD dst_unused:UNUSED_PAD src0_sel:WORD_1 src1_sel:WORD_1
	v_add_f16_e32 v11, v11, v62
	v_pk_mul_f16 v62, v13, s34 op_sel_hi:[0,1]
	v_mul_f16_e32 v43, 0xbbad, v1
	v_pk_fma_f16 v13, v1, s26, v62 op_sel_hi:[0,1,1] neg_lo:[0,0,1] neg_hi:[0,0,1]
	v_pk_mul_f16 v15, v15, s31 op_sel_hi:[0,1]
	v_pk_fma_f16 v1, v1, s26, v62 op_sel_hi:[0,1,1]
	v_mul_f16_e32 v45, 0x3abb, v14
	v_pk_add_f16 v13, v9, v13 op_sel_hi:[0,1]
	v_pk_fma_f16 v65, v14, s25, v15 op_sel_hi:[0,1,1] neg_lo:[0,0,1] neg_hi:[0,0,1]
	v_pk_mul_f16 v40, v40, s30 op_sel_hi:[0,1]
	v_pk_add_f16 v1, v9, v1 op_sel_hi:[0,1]
	v_pk_fma_f16 v14, v14, s25, v15 op_sel_hi:[0,1,1]
	v_pk_add_f16 v13, v65, v13
	v_pk_fma_f16 v65, v37, s23, v40 op_sel_hi:[0,1,1] neg_lo:[0,0,1] neg_hi:[0,0,1]
	v_pk_mul_f16 v42, v42, s29 op_sel_hi:[0,1]
	v_pk_add_f16 v1, v14, v1
	v_pk_fma_f16 v14, v37, s23, v40 op_sel_hi:[0,1,1]
	v_mul_f16_e32 v49, 0x36a6, v41
	v_pk_add_f16 v13, v65, v13
	v_pk_fma_f16 v65, v41, s22, v42 op_sel_hi:[0,1,1] neg_lo:[0,0,1] neg_hi:[0,0,1]
	v_pk_add_f16 v1, v14, v1
	v_pk_fma_f16 v14, v41, s22, v42 op_sel_hi:[0,1,1]
	v_pack_b32_f16 v40, v43, v54
	v_pack_b32_f16 v41, v44, v55
	v_add_f16_e32 v0, v9, v32
	v_pk_add_f16 v40, v40, v41
	v_add_f16_e32 v0, v0, v30
	v_pk_add_f16 v9, v9, v40 op_sel_hi:[0,1]
	v_pack_b32_f16 v40, v45, v56
	v_pack_b32_f16 v41, v46, v57
	v_mul_f16_e32 v47, 0xb93d, v37
	v_add_f16_e32 v0, v0, v28
	v_pk_add_f16 v40, v40, v41
	v_add_f16_e32 v0, v0, v26
	v_pk_add_f16 v13, v65, v13
	v_pk_mul_f16 v65, v53, s27 op_sel_hi:[0,1]
	v_pk_add_f16 v9, v40, v9
	v_pack_b32_f16 v40, v47, v58
	v_pack_b32_f16 v41, v48, v59
	v_add_f16_e32 v0, v0, v17
	v_pk_add_f16 v1, v14, v1
	v_pk_fma_f16 v14, v52, s21, v65 op_sel_hi:[0,1,1]
	v_pk_add_f16 v40, v40, v41
	v_add_f16_e32 v0, v0, v23
	v_pk_add_f16 v15, v14, v1
	v_mul_f16_e32 v1, 0xb08e, v52
	v_mul_f16_e32 v37, 0xbbeb, v53
	v_pk_add_f16 v9, v40, v9
	v_pack_b32_f16 v40, v49, v60
	v_pack_b32_f16 v41, v50, v61
	v_add_f16_e32 v0, v0, v22
	v_fma_f16 v14, v52, s16, -v37
	v_pk_add_f16 v40, v40, v41
	v_pack_b32_f16 v1, v1, v63
	v_pack_b32_f16 v37, v37, v64
	v_add_f16_e32 v0, v0, v21
	v_pk_add_f16 v9, v40, v9
	v_pk_add_f16 v1, v1, v37
	v_mov_b32_e32 v37, 1
	v_add_f16_e32 v0, v0, v19
	v_pk_fma_f16 v66, v52, s21, v65 op_sel_hi:[0,1,1] neg_lo:[0,0,1] neg_hi:[0,0,1]
	v_pk_add_f16 v9, v1, v9
	v_mul_u32_u24_e32 v1, 0x11e, v38
	v_lshlrev_b32_sdwa v37, v37, v39 dst_sel:DWORD dst_unused:UNUSED_PAD src0_sel:DWORD src1_sel:BYTE_0
	v_add_f16_e32 v0, v0, v18
	v_pk_add_f16 v13, v66, v13
	v_add_f16_e32 v14, v14, v51
	v_add3_u32 v37, 0, v1, v37
	ds_write_b16 v37, v0
	ds_write_b16 v37, v12 offset:26
	ds_write_b16_d16_hi v37, v12 offset:52
	ds_write_b16 v37, v13 offset:78
	ds_write_b16_d16_hi v37, v13 offset:104
	ds_write_b16 v37, v14 offset:130
	ds_write_b16 v37, v9 offset:156
	ds_write_b16_d16_hi v37, v15 offset:182
	ds_write_b16 v37, v15 offset:208
	ds_write_b16 v37, v11 offset:234
	ds_write_b16_d16_hi v37, v9 offset:260
	s_waitcnt lgkmcnt(0)
	s_barrier
	s_and_saveexec_b64 s[4:5], vcc
	s_cbranch_execz .LBB0_17
; %bb.16:
	ds_read_u16 v1, v6 offset:2288
	ds_read_u16 v11, v6 offset:2574
	ds_read_u16 v9, v6 offset:2860
	ds_read_u16 v10, v6 offset:3146
	ds_read_u16 v12, v6 offset:3432
	ds_read_u16 v0, v6
	ds_read_u16 v13, v6 offset:286
	ds_read_u16 v15, v6 offset:572
	;; [unrolled: 1-line block ×7, first 2 shown]
	s_mov_b32 s36, 0x5040100
	s_waitcnt lgkmcnt(8)
	v_perm_b32 v10, v12, v10, s36
	s_waitcnt lgkmcnt(5)
	v_perm_b32 v12, v15, v13, s36
	s_waitcnt lgkmcnt(3)
	v_perm_b32 v13, v39, v38, s36
	s_waitcnt lgkmcnt(1)
	v_perm_b32 v9, v9, v40, s36
	s_waitcnt lgkmcnt(0)
	v_perm_b32 v15, v41, v1, s36
.LBB0_17:
	s_or_b64 exec, exec, s[4:5]
	v_add_f16_e32 v1, v16, v33
	v_add_f16_e32 v1, v1, v31
	;; [unrolled: 1-line block ×7, first 2 shown]
	v_sub_f16_e32 v32, v32, v18
	v_add_f16_e32 v1, v1, v34
	v_add_f16_e32 v33, v33, v36
	v_mul_f16_e32 v38, 0xb482, v32
	v_sub_f16_e32 v19, v30, v19
	v_add_f16_e32 v1, v1, v35
	v_fma_f16 v18, v33, s6, -v38
	v_add_f16_e32 v31, v31, v35
	v_mul_f16_e32 v35, 0x3853, v19
	v_sub_f16_e32 v21, v28, v21
	v_add_f16_e32 v18, v16, v18
	v_fma_f16 v39, v31, s7, -v35
	;; [unrolled: 5-line block ×3, first 2 shown]
	v_add_f16_e32 v25, v27, v25
	v_mul_f16_e32 v27, 0x3b47, v22
	v_add_f16_e32 v18, v39, v18
	v_fma_f16 v39, v25, s15, -v27
	v_sub_f16_e32 v23, v17, v23
	v_pk_mul_f16 v17, v33, s17 op_sel_hi:[0,1]
	v_add_f16_e32 v39, v39, v18
	v_add_f16_e32 v24, v20, v24
	v_pk_fma_f16 v18, v32, s9, v17 op_sel_hi:[0,1,1] neg_lo:[1,0,0] neg_hi:[1,0,0]
	v_pk_mul_f16 v20, v31, s19 op_sel_hi:[0,1]
	v_pk_add_f16 v18, v16, v18 op_sel_hi:[0,1]
	v_pk_fma_f16 v40, v19, s14, v20 op_sel_hi:[0,1,1] neg_lo:[1,0,0] neg_hi:[1,0,0]
	v_pk_add_f16 v18, v40, v18
	v_pk_mul_f16 v40, v29, s24 op_sel_hi:[0,1]
	v_pk_fma_f16 v41, v21, s18, v40 op_sel_hi:[0,1,1] neg_lo:[1,0,0] neg_hi:[1,0,0]
	v_pk_fma_f16 v17, v32, s9, v17 op_sel_hi:[0,1,1]
	v_pk_add_f16 v18, v41, v18
	v_pk_mul_f16 v41, v25, s33 op_sel_hi:[0,1]
	v_pk_add_f16 v17, v16, v17 op_sel_hi:[0,1]
	v_pk_fma_f16 v20, v19, s14, v20 op_sel_hi:[0,1,1]
	v_pk_fma_f16 v42, v22, s20, v41 op_sel_hi:[0,1,1] neg_lo:[1,0,0] neg_hi:[1,0,0]
	v_pk_add_f16 v17, v20, v17
	v_pk_fma_f16 v20, v21, s18, v40 op_sel_hi:[0,1,1]
	v_pk_add_f16 v42, v42, v18
	v_pk_mul_f16 v18, v24, s35 op_sel_hi:[0,1]
	v_pk_add_f16 v17, v20, v17
	v_pk_fma_f16 v20, v22, s20, v41 op_sel_hi:[0,1,1]
	v_pk_fma_f16 v43, v23, s28, v18 op_sel_hi:[0,1,1] neg_lo:[1,0,0] neg_hi:[1,0,0]
	v_pk_add_f16 v17, v20, v17
	v_pk_fma_f16 v18, v23, s28, v18 op_sel_hi:[0,1,1]
	v_pk_mul_f16 v40, v33, s26 op_sel_hi:[0,1]
	v_pk_mul_f16 v32, v32, s34 op_sel_hi:[0,1]
	v_pk_add_f16 v18, v18, v17
	v_pk_add_f16 v17, v43, v42
	v_add_f16_e32 v20, v32, v40
	v_pk_mul_f16 v41, v31, s25 op_sel_hi:[0,1]
	v_pk_mul_f16 v42, v19, s31 op_sel_hi:[0,1]
	v_add_f16_e32 v1, v1, v36
	v_mul_f16_e32 v36, 0xbbad, v33
	v_add_f16_e32 v20, v16, v20
	v_pk_fma_f16 v33, v33, s26, v32 op_sel_hi:[0,1,1] neg_lo:[0,0,1] neg_hi:[0,0,1]
	v_add_f16_e32 v19, v42, v41
	v_pk_add_f16 v33, v16, v33 op_sel_hi:[0,1]
	v_add_f16_e32 v19, v19, v20
	v_pk_fma_f16 v20, v31, s25, v42 op_sel_hi:[0,1,1] neg_lo:[0,0,1] neg_hi:[0,0,1]
	v_pk_mul_f16 v21, v21, s30 op_sel_hi:[0,1]
	s_mov_b32 s4, 0xffff
	v_mul_f16_e32 v30, 0x3abb, v31
	v_mul_f16_e32 v28, 0xb93d, v29
	v_pk_add_f16 v20, v20, v33
	v_pk_mul_f16 v31, v29, s23 op_sel_hi:[0,1]
	v_pk_fma_f16 v29, v29, s23, v21 op_sel_hi:[0,1,1] neg_lo:[0,0,1] neg_hi:[0,0,1]
	v_bfi_b32 v32, s4, v38, v32
	v_bfi_b32 v36, s4, v36, v40
	v_add_f16_e32 v33, v21, v31
	v_pk_add_f16 v20, v29, v20
	v_pk_mul_f16 v29, v25, s22 op_sel_hi:[0,1]
	v_pk_mul_f16 v22, v22, s29 op_sel_hi:[0,1]
	v_pk_add_f16 v32, v32, v36
	v_mul_f16_e32 v26, 0x36a6, v25
	v_add_f16_e32 v19, v33, v19
	v_add_f16_e32 v33, v22, v29
	v_pk_fma_f16 v25, v25, s22, v22 op_sel_hi:[0,1,1] neg_lo:[0,0,1] neg_hi:[0,0,1]
	v_pk_add_f16 v16, v16, v32 op_sel_hi:[0,1]
	v_bfi_b32 v32, s4, v35, v42
	v_bfi_b32 v30, s4, v30, v41
	v_add_f16_e32 v19, v33, v19
	v_pk_add_f16 v20, v25, v20
	v_pk_mul_f16 v25, v24, s21 op_sel_hi:[0,1]
	v_pk_mul_f16 v33, v23, s27 op_sel_hi:[0,1]
	v_pk_add_f16 v30, v32, v30
	v_bfi_b32 v21, s4, v34, v21
	v_bfi_b32 v28, s4, v28, v31
	v_add_f16_e32 v43, v33, v25
	v_pk_add_f16 v16, v30, v16
	v_pk_add_f16 v21, v21, v28
	v_add_f16_e32 v19, v43, v19
	v_pk_fma_f16 v43, v24, s21, v33 op_sel_hi:[0,1,1] neg_lo:[0,0,1] neg_hi:[0,0,1]
	v_pk_add_f16 v16, v21, v16
	v_bfi_b32 v21, s4, v27, v22
	v_bfi_b32 v22, s4, v26, v29
	v_pk_add_f16 v20, v43, v20
	v_mul_f16_e32 v43, 0xb08e, v24
	v_mul_f16_e32 v23, 0xbbeb, v23
	v_pk_add_f16 v21, v21, v22
	v_pk_add_f16 v16, v21, v16
	v_bfi_b32 v21, s4, v23, v33
	v_bfi_b32 v22, s4, v43, v25
	v_pk_add_f16 v21, v21, v22
	v_pk_add_f16 v21, v21, v16
	v_fma_f16 v16, v24, s16, -v23
	v_add_f16_e32 v16, v16, v39
	s_barrier
	ds_write_b16 v37, v1
	ds_write_b16 v37, v18 offset:26
	ds_write_b16_d16_hi v37, v18 offset:52
	ds_write_b16 v37, v19 offset:78
	ds_write_b16_d16_hi v37, v21 offset:104
	ds_write_b16 v37, v21 offset:130
	ds_write_b16 v37, v16 offset:156
	ds_write_b16_d16_hi v37, v20 offset:182
	ds_write_b16 v37, v20 offset:208
	ds_write_b16_d16_hi v37, v17 offset:234
	ds_write_b16 v37, v17 offset:260
	s_waitcnt lgkmcnt(0)
	s_barrier
	s_and_saveexec_b64 s[4:5], vcc
	s_cbranch_execnz .LBB0_20
; %bb.18:
	s_or_b64 exec, exec, s[4:5]
	s_and_saveexec_b64 s[4:5], s[2:3]
	s_cbranch_execnz .LBB0_21
.LBB0_19:
	s_endpgm
.LBB0_20:
	ds_read_u16 v18, v6 offset:2002
	ds_read_u16 v20, v6 offset:2288
	;; [unrolled: 1-line block ×6, first 2 shown]
	ds_read_u16 v1, v6
	ds_read_u16 v23, v6 offset:286
	ds_read_u16 v24, v6 offset:572
	;; [unrolled: 1-line block ×6, first 2 shown]
	s_mov_b32 s6, 0x5040100
	s_waitcnt lgkmcnt(7)
	v_perm_b32 v2, v22, v2, s6
	v_perm_b32 v17, v17, v21, s6
	;; [unrolled: 1-line block ×3, first 2 shown]
	s_waitcnt lgkmcnt(1)
	v_perm_b32 v21, v25, v26, s6
	v_perm_b32 v18, v24, v23, s6
	s_or_b64 exec, exec, s[4:5]
	s_and_saveexec_b64 s[4:5], s[2:3]
	s_cbranch_execz .LBB0_19
.LBB0_21:
	v_mul_u32_u24_e32 v6, 12, v5
	v_lshlrev_b32_e32 v6, 2, v6
	global_load_dwordx4 v[22:25], v6, s[12:13] offset:520
	global_load_dwordx4 v[26:29], v6, s[12:13] offset:552
	;; [unrolled: 1-line block ×3, first 2 shown]
	v_mul_lo_u32 v6, s1, v7
	v_mul_lo_u32 v34, s0, v8
	v_mad_u64_u32 v[7:8], s[0:1], s0, v7, 0
	v_lshrrev_b32_e32 v36, 16, v2
	v_lshrrev_b32_e32 v35, 16, v10
	;; [unrolled: 1-line block ×3, first 2 shown]
	v_add3_u32 v8, v8, v34, v6
	v_lshrrev_b32_e32 v37, 16, v12
	v_lshrrev_b32_e32 v42, 16, v17
	;; [unrolled: 1-line block ×3, first 2 shown]
	s_mov_b32 s0, 0xbbc4
	v_lshrrev_b32_e32 v39, 16, v9
	v_lshrrev_b32_e32 v43, 16, v15
	;; [unrolled: 1-line block ×3, first 2 shown]
	s_movk_i32 s2, 0x3b15
	v_lshrrev_b32_e32 v40, 16, v13
	s_mov_b32 s1, 0xb9fd
	s_movk_i32 s3, 0x388b
	s_mov_b32 s4, 0xb5ac
	s_movk_i32 s5, 0x2fb7
	s_waitcnt vmcnt(2)
	v_mul_f16_sdwa v6, v18, v22 dst_sel:DWORD dst_unused:UNUSED_PAD src0_sel:DWORD src1_sel:WORD_1
	s_waitcnt vmcnt(1)
	v_mul_f16_sdwa v34, v36, v29 dst_sel:DWORD dst_unused:UNUSED_PAD src0_sel:DWORD src1_sel:WORD_1
	v_mul_f16_sdwa v45, v35, v29 dst_sel:DWORD dst_unused:UNUSED_PAD src0_sel:DWORD src1_sel:WORD_1
	;; [unrolled: 1-line block ×5, first 2 shown]
	s_waitcnt vmcnt(0)
	v_mul_f16_sdwa v59, v21, v30 dst_sel:DWORD dst_unused:UNUSED_PAD src0_sel:DWORD src1_sel:WORD_1
	v_mul_f16_sdwa v62, v14, v30 dst_sel:DWORD dst_unused:UNUSED_PAD src0_sel:DWORD src1_sel:WORD_1
	v_fma_f16 v6, v12, v22, -v6
	v_fma_f16 v12, v35, v29, -v34
	v_mul_f16_sdwa v49, v10, v28 dst_sel:DWORD dst_unused:UNUSED_PAD src0_sel:DWORD src1_sel:WORD_1
	v_mul_f16_sdwa v50, v37, v23 dst_sel:DWORD dst_unused:UNUSED_PAD src0_sel:DWORD src1_sel:WORD_1
	v_mul_f16_sdwa v56, v42, v26 dst_sel:DWORD dst_unused:UNUSED_PAD src0_sel:DWORD src1_sel:WORD_1
	v_mul_f16_sdwa v57, v11, v26 dst_sel:DWORD dst_unused:UNUSED_PAD src0_sel:DWORD src1_sel:WORD_1
	v_mul_f16_sdwa v60, v20, v33 dst_sel:DWORD dst_unused:UNUSED_PAD src0_sel:DWORD src1_sel:WORD_1
	v_mul_f16_sdwa v61, v15, v33 dst_sel:DWORD dst_unused:UNUSED_PAD src0_sel:DWORD src1_sel:WORD_1
	v_fma_f16 v29, v36, v29, v45
	v_fma_f16 v18, v18, v22, v46
	v_fma_f16 v22, v37, v23, -v47
	v_fma_f16 v10, v10, v28, -v48
	;; [unrolled: 1-line block ×3, first 2 shown]
	v_fma_f16 v21, v21, v30, v62
	v_sub_f16_e32 v30, v6, v12
	v_mul_f16_sdwa v51, v19, v24 dst_sel:DWORD dst_unused:UNUSED_PAD src0_sel:DWORD src1_sel:WORD_1
	v_mul_f16_sdwa v52, v17, v27 dst_sel:DWORD dst_unused:UNUSED_PAD src0_sel:DWORD src1_sel:WORD_1
	v_fma_f16 v2, v2, v28, v49
	v_fma_f16 v23, v38, v23, v50
	v_fma_f16 v11, v11, v26, -v56
	v_fma_f16 v26, v42, v26, v57
	v_fma_f16 v15, v15, v33, -v60
	v_fma_f16 v20, v20, v33, v61
	v_add_f16_e32 v33, v18, v29
	v_sub_f16_e32 v34, v22, v10
	v_mul_f16_e32 v42, 0xb3a8, v30
	v_mul_f16_sdwa v53, v39, v27 dst_sel:DWORD dst_unused:UNUSED_PAD src0_sel:DWORD src1_sel:WORD_1
	v_mul_f16_sdwa v54, v13, v24 dst_sel:DWORD dst_unused:UNUSED_PAD src0_sel:DWORD src1_sel:WORD_1
	;; [unrolled: 1-line block ×3, first 2 shown]
	v_fma_f16 v13, v13, v24, -v51
	v_fma_f16 v28, v39, v27, -v52
	v_add_f16_e32 v35, v23, v2
	v_mul_f16_e32 v45, 0x3770, v34
	v_fma_f16 v49, v33, s0, v42
	v_mul_f16_sdwa v58, v40, v25 dst_sel:DWORD dst_unused:UNUSED_PAD src0_sel:DWORD src1_sel:WORD_1
	v_fma_f16 v17, v17, v27, v53
	v_fma_f16 v19, v19, v24, v54
	v_fma_f16 v24, v40, v25, -v55
	v_sub_f16_e32 v36, v13, v28
	v_fma_f16 v50, v35, s2, v45
	v_add_f16_e32 v49, v1, v49
	s_waitcnt lgkmcnt(0)
	v_mul_f16_sdwa v63, v16, v31 dst_sel:DWORD dst_unused:UNUSED_PAD src0_sel:DWORD src1_sel:WORD_1
	v_fma_f16 v25, v41, v25, v58
	v_add_f16_e32 v37, v19, v17
	v_sub_f16_e32 v38, v24, v11
	v_mul_f16_e32 v46, 0xb94e, v36
	v_add_f16_e32 v49, v49, v50
	v_mul_f16_sdwa v50, v44, v32 dst_sel:DWORD dst_unused:UNUSED_PAD src0_sel:DWORD src1_sel:WORD_1
	v_fma_f16 v27, v9, v31, -v63
	v_add_f16_e32 v39, v25, v26
	v_sub_f16_e32 v40, v14, v15
	v_mul_f16_e32 v47, 0x3a95, v38
	v_fma_f16 v51, v37, s1, v46
	v_fma_f16 v50, v43, v32, -v50
	v_mul_f16_sdwa v43, v43, v32 dst_sel:DWORD dst_unused:UNUSED_PAD src0_sel:DWORD src1_sel:WORD_1
	v_mul_f16_sdwa v9, v9, v31 dst_sel:DWORD dst_unused:UNUSED_PAD src0_sel:DWORD src1_sel:WORD_1
	v_add_f16_e32 v41, v21, v20
	v_mul_f16_e32 v48, 0xbb7b, v40
	v_fma_f16 v52, v39, s3, v47
	v_add_f16_e32 v49, v49, v51
	v_sub_f16_e32 v51, v27, v50
	v_fma_f16 v32, v44, v32, v43
	v_fma_f16 v9, v16, v31, v9
	;; [unrolled: 1-line block ×3, first 2 shown]
	v_add_f16_e32 v49, v49, v52
	v_mul_f16_e32 v52, 0x3bf1, v51
	v_add_f16_e32 v16, v9, v32
	v_add_f16_e32 v49, v49, v53
	v_fma_f16 v31, v16, s5, v52
	v_sub_f16_e32 v44, v18, v29
	v_add_f16_e32 v31, v49, v31
	v_add_f16_e32 v43, v6, v12
	v_mul_f16_e32 v49, 0xb3a8, v44
	v_sub_f16_e32 v55, v23, v2
	v_fma_f16 v53, v43, s0, -v49
	v_add_f16_e32 v54, v22, v10
	v_mul_f16_e32 v56, 0x3770, v55
	v_add_f16_e32 v53, v0, v53
	v_fma_f16 v57, v54, s2, -v56
	v_sub_f16_e32 v58, v19, v17
	v_add_f16_e32 v53, v53, v57
	v_add_f16_e32 v57, v13, v28
	v_mul_f16_e32 v59, 0xb94e, v58
	v_fma_f16 v60, v57, s1, -v59
	v_sub_f16_e32 v61, v25, v26
	v_add_f16_e32 v53, v53, v60
	v_add_f16_e32 v60, v24, v11
	v_mul_f16_e32 v62, 0x3a95, v61
	;; [unrolled: 5-line block ×4, first 2 shown]
	v_fma_f16 v69, v66, s5, -v68
	v_add_f16_e32 v53, v53, v69
	v_mul_f16_e32 v69, 0xb94e, v30
	v_fma_f16 v70, v33, s1, v69
	v_mul_f16_e32 v71, 0x3bf1, v34
	v_add_f16_e32 v70, v1, v70
	v_fma_f16 v72, v35, s5, v71
	v_add_f16_e32 v70, v70, v72
	v_mul_f16_e32 v72, 0xba95, v36
	v_fma_f16 v73, v37, s3, v72
	v_add_f16_e32 v70, v70, v73
	v_mul_f16_e32 v73, 0x33a8, v38
	;; [unrolled: 3-line block ×3, first 2 shown]
	v_add_f16_e32 v6, v0, v6
	v_fma_f16 v75, v41, s2, v74
	v_add_f16_e32 v6, v6, v22
	v_add_f16_e32 v70, v70, v75
	v_mul_f16_e32 v75, 0xbb7b, v51
	v_add_f16_e32 v6, v6, v13
	v_fma_f16 v76, v16, s4, v75
	v_add_f16_e32 v6, v6, v24
	v_add_f16_e32 v70, v70, v76
	v_mul_f16_e32 v76, 0xb94e, v44
	v_add_f16_e32 v6, v6, v14
	v_fma_f16 v77, v43, s1, -v76
	v_mul_f16_e32 v78, 0x3bf1, v55
	v_add_f16_e32 v6, v6, v27
	v_add_f16_e32 v77, v0, v77
	v_fma_f16 v79, v54, s5, -v78
	v_add_f16_e32 v6, v6, v50
	v_add_f16_e32 v77, v77, v79
	v_mul_f16_e32 v79, 0xba95, v58
	v_add_f16_e32 v6, v15, v6
	v_fma_f16 v80, v57, s3, -v79
	v_add_f16_e32 v6, v11, v6
	v_add_f16_e32 v77, v77, v80
	v_mul_f16_e32 v80, 0x33a8, v61
	;; [unrolled: 5-line block ×3, first 2 shown]
	v_add_f16_e32 v10, v12, v6
	v_add_f16_e32 v6, v1, v18
	v_fma_f16 v82, v63, s2, -v81
	v_add_f16_e32 v6, v6, v23
	v_add_f16_e32 v77, v77, v82
	v_mul_f16_e32 v82, 0xbb7b, v67
	v_add_f16_e32 v6, v6, v19
	v_fma_f16 v83, v66, s4, -v82
	v_add_f16_e32 v6, v6, v25
	v_add_f16_e32 v77, v77, v83
	v_mul_f16_e32 v83, 0xbb7b, v30
	v_add_f16_e32 v6, v6, v21
	v_fma_f16 v84, v33, s4, v83
	v_mul_f16_e32 v85, 0x394e, v34
	v_add_f16_e32 v6, v6, v9
	v_add_f16_e32 v84, v1, v84
	v_fma_f16 v86, v35, s1, v85
	v_add_f16_e32 v6, v6, v32
	v_add_f16_e32 v84, v84, v86
	v_mul_f16_e32 v86, 0x3770, v36
	v_add_f16_e32 v6, v20, v6
	v_fma_f16 v87, v37, s2, v86
	v_add_f16_e32 v6, v26, v6
	v_add_f16_e32 v84, v84, v87
	v_mul_f16_e32 v87, 0xbbf1, v38
	v_add_f16_e32 v6, v17, v6
	v_fma_f16 v88, v39, s5, v87
	v_add_f16_e32 v2, v2, v6
	v_fma_f16 v6, v33, s0, -v42
	v_add_f16_e32 v84, v84, v88
	v_mul_f16_e32 v88, 0x33a8, v40
	v_add_f16_e32 v6, v1, v6
	v_fma_f16 v9, v35, s2, -v45
	v_fma_f16 v89, v41, s0, v88
	v_add_f16_e32 v6, v6, v9
	v_fma_f16 v9, v37, s1, -v46
	v_add_f16_e32 v84, v84, v89
	v_mul_f16_e32 v89, 0x3a95, v51
	v_add_f16_e32 v6, v6, v9
	v_fma_f16 v9, v39, s3, -v47
	;; [unrolled: 7-line block ×3, first 2 shown]
	v_fma_f16 v91, v43, s4, -v90
	v_mul_f16_e32 v92, 0x394e, v55
	v_add_f16_e32 v9, v6, v9
	v_fma_f16 v6, v43, s0, v49
	v_add_f16_e32 v91, v0, v91
	v_fma_f16 v93, v54, s1, -v92
	v_add_f16_e32 v6, v0, v6
	v_fma_f16 v11, v54, s2, v56
	v_add_f16_e32 v91, v91, v93
	v_mul_f16_e32 v93, 0x3770, v58
	v_add_f16_e32 v6, v6, v11
	v_fma_f16 v11, v57, s1, v59
	v_fma_f16 v94, v57, s2, -v93
	v_add_f16_e32 v6, v6, v11
	v_fma_f16 v11, v60, s3, v62
	v_add_f16_e32 v91, v91, v94
	v_mul_f16_e32 v94, 0xbbf1, v61
	v_add_f16_e32 v6, v6, v11
	v_fma_f16 v11, v63, s4, v65
	v_fma_f16 v95, v60, s5, -v94
	v_add_f16_e32 v6, v6, v11
	v_fma_f16 v11, v66, s5, v68
	v_add_f16_e32 v91, v91, v95
	v_mul_f16_e32 v95, 0x33a8, v64
	v_add_f16_e32 v11, v6, v11
	v_fma_f16 v6, v33, s1, -v69
	v_fma_f16 v96, v63, s0, -v95
	v_add_f16_e32 v6, v1, v6
	v_fma_f16 v12, v35, s5, -v71
	v_add_f16_e32 v91, v91, v96
	v_mul_f16_e32 v96, 0x3a95, v67
	v_add_f16_e32 v6, v6, v12
	v_fma_f16 v12, v37, s3, -v72
	v_fma_f16 v97, v66, s3, -v96
	v_add_f16_e32 v6, v6, v12
	v_fma_f16 v12, v39, s0, -v73
	v_add_f16_e32 v91, v91, v97
	v_mul_f16_e32 v97, 0xbbf1, v30
	v_add_f16_e32 v6, v6, v12
	v_fma_f16 v12, v41, s2, -v74
	v_fma_f16 v98, v33, s5, v97
	v_mul_f16_e32 v99, 0xb3a8, v34
	v_add_f16_e32 v6, v6, v12
	v_fma_f16 v12, v16, s4, -v75
	v_add_f16_e32 v98, v1, v98
	v_fma_f16 v100, v35, s0, v99
	v_add_f16_e32 v12, v6, v12
	v_fma_f16 v6, v43, s1, v76
	v_add_f16_e32 v98, v98, v100
	v_mul_f16_e32 v100, 0x3b7b, v36
	v_add_f16_e32 v6, v0, v6
	v_fma_f16 v13, v54, s5, v78
	v_fma_f16 v101, v37, s4, v100
	v_add_f16_e32 v6, v6, v13
	v_fma_f16 v13, v57, s3, v79
	v_add_f16_e32 v98, v98, v101
	v_mul_f16_e32 v101, 0x3770, v38
	v_add_f16_e32 v6, v6, v13
	v_fma_f16 v13, v60, s0, v80
	v_fma_f16 v102, v39, s2, v101
	v_add_f16_e32 v6, v6, v13
	v_fma_f16 v13, v63, s2, v81
	v_add_f16_e32 v98, v98, v102
	v_mul_f16_e32 v102, 0xba95, v40
	v_add_f16_e32 v6, v6, v13
	v_fma_f16 v13, v66, s4, v82
	v_fma_f16 v103, v41, s3, v102
	v_add_f16_e32 v13, v6, v13
	v_fma_f16 v6, v33, s4, -v83
	v_add_f16_e32 v98, v98, v103
	v_mul_f16_e32 v103, 0xb94e, v51
	v_add_f16_e32 v6, v1, v6
	v_fma_f16 v14, v35, s1, -v85
	v_fma_f16 v104, v16, s1, v103
	v_add_f16_e32 v6, v6, v14
	v_fma_f16 v14, v37, s2, -v86
	v_add_f16_e32 v98, v98, v104
	v_mul_f16_e32 v104, 0xbbf1, v44
	v_add_f16_e32 v6, v6, v14
	v_fma_f16 v14, v39, s5, -v87
	v_fma_f16 v105, v43, s5, -v104
	v_mul_f16_e32 v106, 0xb3a8, v55
	v_add_f16_e32 v6, v6, v14
	v_fma_f16 v14, v41, s0, -v88
	v_add_f16_e32 v105, v0, v105
	v_fma_f16 v107, v54, s0, -v106
	;; [unrolled: 2-line block ×3, first 2 shown]
	v_add_f16_e32 v105, v105, v107
	v_mul_f16_e32 v107, 0x3b7b, v58
	v_add_f16_e32 v14, v6, v14
	v_fma_f16 v6, v43, s4, v90
	v_fma_f16 v108, v57, s4, -v107
	v_add_f16_e32 v6, v0, v6
	v_fma_f16 v15, v54, s1, v92
	v_add_f16_e32 v105, v105, v108
	v_mul_f16_e32 v108, 0x3770, v61
	v_add_f16_e32 v6, v6, v15
	v_fma_f16 v15, v57, s2, v93
	v_fma_f16 v109, v60, s2, -v108
	v_add_f16_e32 v6, v6, v15
	v_fma_f16 v15, v60, s5, v94
	;; [unrolled: 7-line block ×3, first 2 shown]
	v_add_f16_e32 v105, v105, v110
	v_mul_f16_e32 v110, 0xb94e, v67
	v_add_f16_e32 v15, v6, v15
	v_fma_f16 v6, v33, s5, -v97
	v_fma_f16 v111, v66, s1, -v110
	v_add_f16_e32 v6, v1, v6
	v_fma_f16 v17, v35, s0, -v99
	v_add_f16_e32 v105, v105, v111
	v_mul_f16_e32 v111, 0xba95, v30
	v_add_f16_e32 v6, v6, v17
	v_fma_f16 v17, v37, s4, -v100
	v_fma_f16 v112, v33, s3, v111
	v_mul_f16_e32 v113, 0xbb7b, v34
	v_add_f16_e32 v6, v6, v17
	v_fma_f16 v17, v39, s2, -v101
	v_add_f16_e32 v112, v1, v112
	v_fma_f16 v114, v35, s4, v113
	v_add_f16_e32 v6, v6, v17
	v_fma_f16 v17, v41, s3, -v102
	v_add_f16_e32 v112, v112, v114
	v_mul_f16_e32 v114, 0xb3a8, v36
	v_add_f16_e32 v6, v6, v17
	v_fma_f16 v17, v16, s1, -v103
	v_fma_f16 v115, v37, s0, v114
	v_add_f16_e32 v17, v6, v17
	v_fma_f16 v6, v43, s5, v104
	v_add_f16_e32 v112, v112, v115
	v_mul_f16_e32 v115, 0x394e, v38
	v_add_f16_e32 v6, v0, v6
	v_fma_f16 v18, v54, s0, v106
	v_fma_f16 v116, v39, s1, v115
	v_add_f16_e32 v6, v6, v18
	v_fma_f16 v18, v57, s4, v107
	v_add_f16_e32 v112, v112, v116
	v_mul_f16_e32 v116, 0x3bf1, v40
	v_add_f16_e32 v6, v6, v18
	v_fma_f16 v18, v60, s2, v108
	;; [unrolled: 7-line block ×3, first 2 shown]
	v_fma_f16 v118, v16, s2, v117
	v_add_f16_e32 v18, v6, v18
	v_fma_f16 v6, v33, s3, -v111
	v_add_f16_e32 v112, v112, v118
	v_mul_f16_e32 v118, 0xba95, v44
	v_add_f16_e32 v6, v1, v6
	v_fma_f16 v19, v35, s4, -v113
	v_fma_f16 v119, v43, s3, -v118
	v_mul_f16_e32 v120, 0xbb7b, v55
	v_add_f16_e32 v6, v6, v19
	v_fma_f16 v19, v37, s0, -v114
	v_add_f16_e32 v119, v0, v119
	v_fma_f16 v121, v54, s4, -v120
	;; [unrolled: 2-line block ×3, first 2 shown]
	v_add_f16_e32 v119, v119, v121
	v_mul_f16_e32 v121, 0xb3a8, v58
	v_add_f16_e32 v6, v6, v19
	v_fma_f16 v19, v41, s5, -v116
	v_fma_f16 v122, v57, s0, -v121
	v_add_f16_e32 v6, v6, v19
	v_fma_f16 v19, v16, s2, -v117
	v_add_f16_e32 v119, v119, v122
	v_mul_f16_e32 v122, 0x394e, v61
	v_add_f16_e32 v19, v6, v19
	v_fma_f16 v6, v43, s3, v118
	v_fma_f16 v123, v60, s1, -v122
	v_add_f16_e32 v6, v0, v6
	v_fma_f16 v20, v54, s4, v120
	v_add_f16_e32 v119, v119, v123
	v_mul_f16_e32 v123, 0x3bf1, v64
	v_add_f16_e32 v6, v6, v20
	v_fma_f16 v20, v57, s0, v121
	v_fma_f16 v124, v63, s5, -v123
	v_add_f16_e32 v6, v6, v20
	v_fma_f16 v20, v60, s1, v122
	v_add_f16_e32 v119, v119, v124
	v_mul_f16_e32 v124, 0x3770, v67
	v_add_f16_e32 v6, v6, v20
	v_fma_f16 v20, v63, s5, v123
	v_fma_f16 v125, v66, s2, -v124
	v_mul_f16_e32 v30, 0xb770, v30
	v_add_f16_e32 v6, v6, v20
	v_fma_f16 v20, v66, s2, v124
	v_add_f16_e32 v119, v119, v125
	v_fma_f16 v125, v33, s2, v30
	v_mul_f16_e32 v34, 0xba95, v34
	v_add_f16_e32 v20, v6, v20
	v_fma_f16 v6, v33, s2, -v30
	v_add_f16_e32 v125, v1, v125
	v_fma_f16 v126, v35, s3, v34
	v_mul_f16_e32 v36, 0xbbf1, v36
	v_add_f16_e32 v1, v1, v6
	v_fma_f16 v6, v35, s3, -v34
	;; [unrolled: 5-line block ×6, first 2 shown]
	v_add_f16_e32 v125, v125, v126
	v_fma_f16 v126, v43, s2, -v44
	v_mul_f16_e32 v55, 0xba95, v55
	v_add_f16_e32 v16, v1, v6
	v_fma_f16 v1, v43, s2, v44
	v_add_f16_e32 v126, v0, v126
	v_mul_f16_e32 v58, 0xbbf1, v58
	v_add_f16_e32 v0, v0, v1
	v_fma_f16 v1, v54, s3, v55
	v_mul_f16_e32 v61, 0xbb7b, v61
	v_add_f16_e32 v0, v0, v1
	v_fma_f16 v1, v57, s5, v58
	;; [unrolled: 3-line block ×4, first 2 shown]
	v_add_f16_e32 v0, v0, v1
	v_fma_f16 v1, v66, s0, v67
	v_add_f16_e32 v21, v0, v1
	v_lshlrev_b64 v[0:1], 2, v[7:8]
	v_mov_b32_e32 v7, s11
	v_add_co_u32_e32 v8, vcc, s10, v0
	v_addc_co_u32_e32 v7, vcc, v7, v1, vcc
	v_lshlrev_b64 v[0:1], 2, v[3:4]
	v_fma_f16 v127, v54, s3, -v55
	v_add_f16_e32 v126, v126, v127
	v_fma_f16 v127, v57, s5, -v58
	v_mov_b32_e32 v6, 0
	v_add_co_u32_e32 v3, vcc, v8, v0
	v_add_f16_e32 v126, v126, v127
	v_fma_f16 v127, v60, s4, -v61
	v_addc_co_u32_e32 v4, vcc, v7, v1, vcc
	v_lshlrev_b64 v[0:1], 2, v[5:6]
	v_add_f16_e32 v126, v126, v127
	v_fma_f16 v127, v63, s1, -v64
	v_add_f16_e32 v126, v126, v127
	v_fma_f16 v127, v66, s0, -v67
	v_add_f16_e32 v2, v29, v2
	v_add_co_u32_e32 v0, vcc, v3, v0
	v_add_f16_e32 v126, v126, v127
	v_addc_co_u32_e32 v1, vcc, v4, v1, vcc
	v_pack_b32_f16 v2, v10, v2
	global_store_dword v[0:1], v2, off
	v_pack_b32_f16 v2, v126, v125
	global_store_dword v[0:1], v2, off offset:572
	v_pack_b32_f16 v2, v119, v112
	global_store_dword v[0:1], v2, off offset:1144
	v_pack_b32_f16 v2, v105, v98
	global_store_dword v[0:1], v2, off offset:1716
	v_pack_b32_f16 v2, v91, v84
	global_store_dword v[0:1], v2, off offset:2288
	v_pack_b32_f16 v2, v77, v70
	global_store_dword v[0:1], v2, off offset:2860
	v_pack_b32_f16 v2, v53, v31
	global_store_dword v[0:1], v2, off offset:3432
	v_pack_b32_f16 v2, v11, v9
	global_store_dword v[0:1], v2, off offset:4004
	v_add_co_u32_e32 v0, vcc, 0x1000, v0
	v_pack_b32_f16 v2, v13, v12
	v_addc_co_u32_e32 v1, vcc, 0, v1, vcc
	global_store_dword v[0:1], v2, off offset:480
	v_pack_b32_f16 v2, v15, v14
	global_store_dword v[0:1], v2, off offset:1052
	v_pack_b32_f16 v2, v18, v17
	global_store_dword v[0:1], v2, off offset:1624
	v_pack_b32_f16 v2, v20, v19
	global_store_dword v[0:1], v2, off offset:2196
	v_pack_b32_f16 v2, v21, v16
	global_store_dword v[0:1], v2, off offset:2768
	s_endpgm
	.section	.rodata,"a",@progbits
	.p2align	6, 0x0
	.amdhsa_kernel fft_rtc_fwd_len1859_factors_13_11_13_wgs_169_tpt_169_halfLds_half_op_CI_CI_unitstride_sbrr_dirReg
		.amdhsa_group_segment_fixed_size 0
		.amdhsa_private_segment_fixed_size 0
		.amdhsa_kernarg_size 104
		.amdhsa_user_sgpr_count 6
		.amdhsa_user_sgpr_private_segment_buffer 1
		.amdhsa_user_sgpr_dispatch_ptr 0
		.amdhsa_user_sgpr_queue_ptr 0
		.amdhsa_user_sgpr_kernarg_segment_ptr 1
		.amdhsa_user_sgpr_dispatch_id 0
		.amdhsa_user_sgpr_flat_scratch_init 0
		.amdhsa_user_sgpr_private_segment_size 0
		.amdhsa_uses_dynamic_stack 0
		.amdhsa_system_sgpr_private_segment_wavefront_offset 0
		.amdhsa_system_sgpr_workgroup_id_x 1
		.amdhsa_system_sgpr_workgroup_id_y 0
		.amdhsa_system_sgpr_workgroup_id_z 0
		.amdhsa_system_sgpr_workgroup_info 0
		.amdhsa_system_vgpr_workitem_id 0
		.amdhsa_next_free_vgpr 128
		.amdhsa_next_free_sgpr 37
		.amdhsa_reserve_vcc 1
		.amdhsa_reserve_flat_scratch 0
		.amdhsa_float_round_mode_32 0
		.amdhsa_float_round_mode_16_64 0
		.amdhsa_float_denorm_mode_32 3
		.amdhsa_float_denorm_mode_16_64 3
		.amdhsa_dx10_clamp 1
		.amdhsa_ieee_mode 1
		.amdhsa_fp16_overflow 0
		.amdhsa_exception_fp_ieee_invalid_op 0
		.amdhsa_exception_fp_denorm_src 0
		.amdhsa_exception_fp_ieee_div_zero 0
		.amdhsa_exception_fp_ieee_overflow 0
		.amdhsa_exception_fp_ieee_underflow 0
		.amdhsa_exception_fp_ieee_inexact 0
		.amdhsa_exception_int_div_zero 0
	.end_amdhsa_kernel
	.text
.Lfunc_end0:
	.size	fft_rtc_fwd_len1859_factors_13_11_13_wgs_169_tpt_169_halfLds_half_op_CI_CI_unitstride_sbrr_dirReg, .Lfunc_end0-fft_rtc_fwd_len1859_factors_13_11_13_wgs_169_tpt_169_halfLds_half_op_CI_CI_unitstride_sbrr_dirReg
                                        ; -- End function
	.section	.AMDGPU.csdata,"",@progbits
; Kernel info:
; codeLenInByte = 10936
; NumSgprs: 41
; NumVgprs: 128
; ScratchSize: 0
; MemoryBound: 0
; FloatMode: 240
; IeeeMode: 1
; LDSByteSize: 0 bytes/workgroup (compile time only)
; SGPRBlocks: 5
; VGPRBlocks: 31
; NumSGPRsForWavesPerEU: 41
; NumVGPRsForWavesPerEU: 128
; Occupancy: 2
; WaveLimiterHint : 1
; COMPUTE_PGM_RSRC2:SCRATCH_EN: 0
; COMPUTE_PGM_RSRC2:USER_SGPR: 6
; COMPUTE_PGM_RSRC2:TRAP_HANDLER: 0
; COMPUTE_PGM_RSRC2:TGID_X_EN: 1
; COMPUTE_PGM_RSRC2:TGID_Y_EN: 0
; COMPUTE_PGM_RSRC2:TGID_Z_EN: 0
; COMPUTE_PGM_RSRC2:TIDIG_COMP_CNT: 0
	.type	__hip_cuid_bf183ed9cea85d9b,@object ; @__hip_cuid_bf183ed9cea85d9b
	.section	.bss,"aw",@nobits
	.globl	__hip_cuid_bf183ed9cea85d9b
__hip_cuid_bf183ed9cea85d9b:
	.byte	0                               ; 0x0
	.size	__hip_cuid_bf183ed9cea85d9b, 1

	.ident	"AMD clang version 19.0.0git (https://github.com/RadeonOpenCompute/llvm-project roc-6.4.0 25133 c7fe45cf4b819c5991fe208aaa96edf142730f1d)"
	.section	".note.GNU-stack","",@progbits
	.addrsig
	.addrsig_sym __hip_cuid_bf183ed9cea85d9b
	.amdgpu_metadata
---
amdhsa.kernels:
  - .args:
      - .actual_access:  read_only
        .address_space:  global
        .offset:         0
        .size:           8
        .value_kind:     global_buffer
      - .offset:         8
        .size:           8
        .value_kind:     by_value
      - .actual_access:  read_only
        .address_space:  global
        .offset:         16
        .size:           8
        .value_kind:     global_buffer
      - .actual_access:  read_only
        .address_space:  global
        .offset:         24
        .size:           8
        .value_kind:     global_buffer
      - .actual_access:  read_only
        .address_space:  global
        .offset:         32
        .size:           8
        .value_kind:     global_buffer
      - .offset:         40
        .size:           8
        .value_kind:     by_value
      - .actual_access:  read_only
        .address_space:  global
        .offset:         48
        .size:           8
        .value_kind:     global_buffer
      - .actual_access:  read_only
        .address_space:  global
        .offset:         56
        .size:           8
        .value_kind:     global_buffer
      - .offset:         64
        .size:           4
        .value_kind:     by_value
      - .actual_access:  read_only
        .address_space:  global
        .offset:         72
        .size:           8
        .value_kind:     global_buffer
      - .actual_access:  read_only
        .address_space:  global
        .offset:         80
        .size:           8
        .value_kind:     global_buffer
      - .actual_access:  read_only
        .address_space:  global
        .offset:         88
        .size:           8
        .value_kind:     global_buffer
      - .actual_access:  write_only
        .address_space:  global
        .offset:         96
        .size:           8
        .value_kind:     global_buffer
    .group_segment_fixed_size: 0
    .kernarg_segment_align: 8
    .kernarg_segment_size: 104
    .language:       OpenCL C
    .language_version:
      - 2
      - 0
    .max_flat_workgroup_size: 169
    .name:           fft_rtc_fwd_len1859_factors_13_11_13_wgs_169_tpt_169_halfLds_half_op_CI_CI_unitstride_sbrr_dirReg
    .private_segment_fixed_size: 0
    .sgpr_count:     41
    .sgpr_spill_count: 0
    .symbol:         fft_rtc_fwd_len1859_factors_13_11_13_wgs_169_tpt_169_halfLds_half_op_CI_CI_unitstride_sbrr_dirReg.kd
    .uniform_work_group_size: 1
    .uses_dynamic_stack: false
    .vgpr_count:     128
    .vgpr_spill_count: 0
    .wavefront_size: 64
amdhsa.target:   amdgcn-amd-amdhsa--gfx906
amdhsa.version:
  - 1
  - 2
...

	.end_amdgpu_metadata
